;; amdgpu-corpus repo=ROCm/rocFFT kind=compiled arch=gfx950 opt=O3
	.text
	.amdgcn_target "amdgcn-amd-amdhsa--gfx950"
	.amdhsa_code_object_version 6
	.protected	fft_rtc_fwd_len336_factors_6_7_8_wgs_336_tpt_56_dp_ip_CI_sbcc_twdbase8_2step_dirReg_intrinsicReadWrite ; -- Begin function fft_rtc_fwd_len336_factors_6_7_8_wgs_336_tpt_56_dp_ip_CI_sbcc_twdbase8_2step_dirReg_intrinsicReadWrite
	.globl	fft_rtc_fwd_len336_factors_6_7_8_wgs_336_tpt_56_dp_ip_CI_sbcc_twdbase8_2step_dirReg_intrinsicReadWrite
	.p2align	8
	.type	fft_rtc_fwd_len336_factors_6_7_8_wgs_336_tpt_56_dp_ip_CI_sbcc_twdbase8_2step_dirReg_intrinsicReadWrite,@function
fft_rtc_fwd_len336_factors_6_7_8_wgs_336_tpt_56_dp_ip_CI_sbcc_twdbase8_2step_dirReg_intrinsicReadWrite: ; @fft_rtc_fwd_len336_factors_6_7_8_wgs_336_tpt_56_dp_ip_CI_sbcc_twdbase8_2step_dirReg_intrinsicReadWrite
; %bb.0:
	s_load_dwordx4 s[4:7], s[0:1], 0x18
	s_mov_b32 s3, 0
	s_mov_b64 s[26:27], 0
	s_waitcnt lgkmcnt(0)
	s_load_dwordx2 s[20:21], s[4:5], 0x8
	s_waitcnt lgkmcnt(0)
	s_add_u32 s8, s20, -1
	s_addc_u32 s9, s21, -1
	s_add_u32 s10, 0, 0xaaa80000
	s_addc_u32 s11, 0, 0xaa
	s_mul_hi_u32 s13, s10, -6
	s_add_i32 s11, s11, 0x2aaaaa00
	s_sub_i32 s13, s13, s10
	s_mul_i32 s16, s11, -6
	s_mul_i32 s12, s10, -6
	s_add_i32 s13, s13, s16
	s_mul_hi_u32 s14, s11, s12
	s_mul_i32 s15, s11, s12
	s_mul_i32 s17, s10, s13
	s_mul_hi_u32 s12, s10, s12
	s_mul_hi_u32 s16, s10, s13
	s_add_u32 s12, s12, s17
	s_addc_u32 s16, 0, s16
	s_add_u32 s12, s12, s15
	s_mul_hi_u32 s17, s11, s13
	s_addc_u32 s12, s16, s14
	s_addc_u32 s14, s17, 0
	s_mul_i32 s13, s11, s13
	s_add_u32 s12, s12, s13
	v_mov_b32_e32 v1, s12
	s_addc_u32 s13, 0, s14
	v_add_co_u32_e32 v1, vcc, s10, v1
	s_cmp_lg_u64 vcc, 0
	s_addc_u32 s10, s11, s13
	v_readfirstlane_b32 s13, v1
	s_mul_i32 s12, s8, s10
	s_mul_hi_u32 s14, s8, s13
	s_mul_hi_u32 s11, s8, s10
	s_add_u32 s12, s14, s12
	s_addc_u32 s11, 0, s11
	s_mul_hi_u32 s15, s9, s13
	s_mul_i32 s13, s9, s13
	s_add_u32 s12, s12, s13
	s_mul_hi_u32 s14, s9, s10
	s_addc_u32 s11, s11, s15
	s_addc_u32 s12, s14, 0
	s_mul_i32 s10, s9, s10
	s_add_u32 s10, s11, s10
	s_addc_u32 s11, 0, s12
	s_add_u32 s12, s10, 1
	s_addc_u32 s13, s11, 0
	s_add_u32 s14, s10, 2
	s_mul_i32 s16, s11, 6
	s_mul_hi_u32 s17, s10, 6
	s_addc_u32 s15, s11, 0
	s_add_i32 s17, s17, s16
	s_mul_i32 s16, s10, 6
	v_mov_b32_e32 v1, s16
	v_sub_co_u32_e32 v1, vcc, s8, v1
	s_cmp_lg_u64 vcc, 0
	s_subb_u32 s8, s9, s17
	v_subrev_co_u32_e32 v2, vcc, 6, v1
	s_cmp_lg_u64 vcc, 0
	s_subb_u32 s9, s8, 0
	v_readfirstlane_b32 s16, v2
	s_cmp_gt_u32 s16, 5
	s_cselect_b32 s16, -1, 0
	s_cmp_eq_u32 s9, 0
	s_cselect_b32 s9, s16, -1
	s_cmp_lg_u32 s9, 0
	s_cselect_b32 s9, s14, s12
	s_cselect_b32 s12, s15, s13
	v_readfirstlane_b32 s13, v1
	s_cmp_gt_u32 s13, 5
	s_cselect_b32 s13, -1, 0
	s_cmp_eq_u32 s8, 0
	s_cselect_b32 s8, s13, -1
	s_cmp_lg_u32 s8, 0
	s_cselect_b32 s9, s9, s10
	s_cselect_b32 s8, s12, s11
	s_add_u32 s22, s9, 1
	s_addc_u32 s23, s8, 0
	v_mov_b64_e32 v[2:3], s[22:23]
	v_cmp_lt_u64_e32 vcc, s[2:3], v[2:3]
	s_cbranch_vccnz .LBB0_2
; %bb.1:
	v_cvt_f32_u32_e32 v1, s22
	s_sub_i32 s8, 0, s22
	s_mov_b32 s27, s3
	v_rcp_iflag_f32_e32 v1, v1
	s_nop 0
	v_mul_f32_e32 v1, 0x4f7ffffe, v1
	v_cvt_u32_f32_e32 v1, v1
	s_nop 0
	v_readfirstlane_b32 s9, v1
	s_mul_i32 s8, s8, s9
	s_mul_hi_u32 s8, s9, s8
	s_add_i32 s9, s9, s8
	s_mul_hi_u32 s8, s2, s9
	s_mul_i32 s10, s8, s22
	s_sub_i32 s10, s2, s10
	s_add_i32 s9, s8, 1
	s_sub_i32 s11, s10, s22
	s_cmp_ge_u32 s10, s22
	s_cselect_b32 s8, s9, s8
	s_cselect_b32 s10, s11, s10
	s_add_i32 s9, s8, 1
	s_cmp_ge_u32 s10, s22
	s_cselect_b32 s26, s9, s8
.LBB0_2:
	s_load_dwordx2 s[16:17], s[0:1], 0x58
	s_load_dwordx4 s[8:11], s[6:7], 0x0
	s_load_dwordx2 s[18:19], s[0:1], 0x0
	s_load_dwordx4 s[12:15], s[0:1], 0x8
	s_mul_i32 s0, s26, s23
	s_mul_hi_u32 s1, s26, s22
	s_add_i32 s1, s1, s0
	s_mul_i32 s0, s26, s22
	s_sub_u32 s0, s2, s0
	s_subb_u32 s1, 0, s1
	s_mul_i32 s1, s1, 6
	s_waitcnt lgkmcnt(0)
	s_mul_hi_u32 s9, s0, 6
	s_add_i32 s25, s9, s1
	s_mul_i32 s24, s0, 6
	s_mul_i32 s0, s10, s25
	s_mul_hi_u32 s1, s10, s24
	s_add_i32 s0, s1, s0
	s_mul_i32 s1, s11, s24
	s_add_i32 s11, s0, s1
	v_cmp_lt_u64_e64 s[0:1], s[14:15], 3
	s_mul_i32 s9, s10, s24
	s_and_b64 vcc, exec, s[0:1]
	s_cbranch_vccnz .LBB0_12
; %bb.3:
	s_add_u32 s28, s6, 16
	s_addc_u32 s29, s7, 0
	s_add_u32 s4, s4, 16
	s_addc_u32 s5, s5, 0
	s_mov_b64 s[30:31], 2
	s_mov_b32 s34, 0
	v_mov_b64_e32 v[2:3], s[14:15]
.LBB0_4:                                ; =>This Inner Loop Header: Depth=1
	s_load_dwordx2 s[36:37], s[4:5], 0x0
	s_waitcnt lgkmcnt(0)
	s_or_b64 s[0:1], s[26:27], s[36:37]
	s_mov_b32 s35, s1
	s_cmp_lg_u64 s[34:35], 0
	s_cbranch_scc0 .LBB0_9
; %bb.5:                                ;   in Loop: Header=BB0_4 Depth=1
	v_cvt_f32_u32_e32 v1, s36
	v_cvt_f32_u32_e32 v4, s37
	s_sub_u32 s0, 0, s36
	s_subb_u32 s1, 0, s37
	v_fmac_f32_e32 v1, 0x4f800000, v4
	v_rcp_f32_e32 v1, v1
	s_nop 0
	v_mul_f32_e32 v1, 0x5f7ffffc, v1
	v_mul_f32_e32 v4, 0x2f800000, v1
	v_trunc_f32_e32 v4, v4
	v_fmac_f32_e32 v1, 0xcf800000, v4
	v_cvt_u32_f32_e32 v4, v4
	v_cvt_u32_f32_e32 v1, v1
	v_readfirstlane_b32 s33, v4
	v_readfirstlane_b32 s35, v1
	s_mul_i32 s38, s0, s33
	s_mul_hi_u32 s40, s0, s35
	s_mul_i32 s39, s1, s35
	s_add_i32 s38, s40, s38
	s_mul_i32 s41, s0, s35
	s_add_i32 s38, s38, s39
	s_mul_hi_u32 s39, s35, s38
	s_mul_i32 s40, s35, s38
	s_mul_hi_u32 s35, s35, s41
	s_add_u32 s35, s35, s40
	s_addc_u32 s39, 0, s39
	s_mul_hi_u32 s42, s33, s41
	s_mul_i32 s41, s33, s41
	s_add_u32 s35, s35, s41
	s_mul_hi_u32 s40, s33, s38
	s_addc_u32 s35, s39, s42
	s_addc_u32 s39, s40, 0
	s_mul_i32 s38, s33, s38
	s_add_u32 s35, s35, s38
	s_addc_u32 s38, 0, s39
	v_add_co_u32_e32 v1, vcc, s35, v1
	s_cmp_lg_u64 vcc, 0
	s_addc_u32 s33, s33, s38
	v_readfirstlane_b32 s38, v1
	s_mul_i32 s35, s0, s33
	s_mul_hi_u32 s39, s0, s38
	s_add_i32 s35, s39, s35
	s_mul_i32 s1, s1, s38
	s_add_i32 s35, s35, s1
	s_mul_i32 s0, s0, s38
	s_mul_hi_u32 s39, s33, s0
	s_mul_i32 s40, s33, s0
	s_mul_i32 s42, s38, s35
	s_mul_hi_u32 s0, s38, s0
	s_mul_hi_u32 s41, s38, s35
	s_add_u32 s0, s0, s42
	s_addc_u32 s38, 0, s41
	s_add_u32 s0, s0, s40
	s_mul_hi_u32 s1, s33, s35
	s_addc_u32 s0, s38, s39
	s_addc_u32 s1, s1, 0
	s_mul_i32 s35, s33, s35
	s_add_u32 s0, s0, s35
	s_addc_u32 s1, 0, s1
	v_add_co_u32_e32 v1, vcc, s0, v1
	s_cmp_lg_u64 vcc, 0
	s_addc_u32 s0, s33, s1
	v_readfirstlane_b32 s35, v1
	s_mul_i32 s33, s26, s0
	s_mul_hi_u32 s38, s26, s35
	s_mul_hi_u32 s1, s26, s0
	s_add_u32 s33, s38, s33
	s_addc_u32 s1, 0, s1
	s_mul_hi_u32 s39, s27, s35
	s_mul_i32 s35, s27, s35
	s_add_u32 s33, s33, s35
	s_mul_hi_u32 s38, s27, s0
	s_addc_u32 s1, s1, s39
	s_addc_u32 s33, s38, 0
	s_mul_i32 s0, s27, s0
	s_add_u32 s35, s1, s0
	s_addc_u32 s33, 0, s33
	s_mul_i32 s0, s36, s33
	s_mul_hi_u32 s1, s36, s35
	s_add_i32 s0, s1, s0
	s_mul_i32 s1, s37, s35
	s_add_i32 s38, s0, s1
	s_mul_i32 s1, s36, s35
	v_mov_b32_e32 v1, s1
	s_sub_i32 s0, s27, s38
	v_sub_co_u32_e32 v1, vcc, s26, v1
	s_cmp_lg_u64 vcc, 0
	s_subb_u32 s39, s0, s37
	v_subrev_co_u32_e64 v4, s[0:1], s36, v1
	s_cmp_lg_u64 s[0:1], 0
	s_subb_u32 s0, s39, 0
	s_cmp_ge_u32 s0, s37
	v_readfirstlane_b32 s39, v4
	s_cselect_b32 s1, -1, 0
	s_cmp_ge_u32 s39, s36
	s_cselect_b32 s39, -1, 0
	s_cmp_eq_u32 s0, s37
	s_cselect_b32 s0, s39, s1
	s_add_u32 s1, s35, 1
	s_addc_u32 s39, s33, 0
	s_add_u32 s40, s35, 2
	s_addc_u32 s41, s33, 0
	s_cmp_lg_u32 s0, 0
	s_cselect_b32 s0, s40, s1
	s_cselect_b32 s1, s41, s39
	s_cmp_lg_u64 vcc, 0
	s_subb_u32 s38, s27, s38
	s_cmp_ge_u32 s38, s37
	v_readfirstlane_b32 s40, v1
	s_cselect_b32 s39, -1, 0
	s_cmp_ge_u32 s40, s36
	s_cselect_b32 s40, -1, 0
	s_cmp_eq_u32 s38, s37
	s_cselect_b32 s38, s40, s39
	s_cmp_lg_u32 s38, 0
	s_cselect_b32 s1, s1, s33
	s_cselect_b32 s0, s0, s35
	s_cbranch_execnz .LBB0_7
.LBB0_6:                                ;   in Loop: Header=BB0_4 Depth=1
	v_cvt_f32_u32_e32 v1, s36
	s_sub_i32 s0, 0, s36
	v_rcp_iflag_f32_e32 v1, v1
	s_nop 0
	v_mul_f32_e32 v1, 0x4f7ffffe, v1
	v_cvt_u32_f32_e32 v1, v1
	s_nop 0
	v_readfirstlane_b32 s1, v1
	s_mul_i32 s0, s0, s1
	s_mul_hi_u32 s0, s1, s0
	s_add_i32 s1, s1, s0
	s_mul_hi_u32 s0, s26, s1
	s_mul_i32 s33, s0, s36
	s_sub_i32 s33, s26, s33
	s_add_i32 s1, s0, 1
	s_sub_i32 s35, s33, s36
	s_cmp_ge_u32 s33, s36
	s_cselect_b32 s0, s1, s0
	s_cselect_b32 s33, s35, s33
	s_add_i32 s1, s0, 1
	s_cmp_ge_u32 s33, s36
	s_cselect_b32 s0, s1, s0
	s_mov_b32 s1, s34
.LBB0_7:                                ;   in Loop: Header=BB0_4 Depth=1
	s_mul_i32 s23, s36, s23
	s_mul_hi_u32 s33, s36, s22
	s_add_i32 s23, s33, s23
	s_mul_i32 s33, s37, s22
	s_add_i32 s23, s23, s33
	s_mul_i32 s33, s0, s37
	s_mul_hi_u32 s35, s0, s36
	s_load_dwordx2 s[38:39], s[28:29], 0x0
	s_add_i32 s33, s35, s33
	s_mul_i32 s35, s1, s36
	s_add_i32 s33, s33, s35
	s_mul_i32 s35, s0, s36
	s_sub_u32 s26, s26, s35
	s_subb_u32 s27, s27, s33
	s_waitcnt lgkmcnt(0)
	s_mul_i32 s27, s38, s27
	s_mul_hi_u32 s33, s38, s26
	s_add_i32 s27, s33, s27
	s_mul_i32 s33, s39, s26
	s_add_i32 s27, s27, s33
	s_mul_i32 s26, s38, s26
	s_add_u32 s9, s26, s9
	s_addc_u32 s11, s27, s11
	s_add_u32 s30, s30, 1
	s_addc_u32 s31, s31, 0
	;; [unrolled: 2-line block ×3, first 2 shown]
	s_add_u32 s4, s4, 8
	v_cmp_ge_u64_e32 vcc, s[30:31], v[2:3]
	s_mul_i32 s22, s36, s22
	s_addc_u32 s5, s5, 0
	s_cbranch_vccnz .LBB0_10
; %bb.8:                                ;   in Loop: Header=BB0_4 Depth=1
	s_mov_b64 s[26:27], s[0:1]
	s_branch .LBB0_4
.LBB0_9:                                ;   in Loop: Header=BB0_4 Depth=1
                                        ; implicit-def: $sgpr0_sgpr1
	s_branch .LBB0_6
.LBB0_10:
	v_mov_b64_e32 v[2:3], s[22:23]
	v_cmp_lt_u64_e32 vcc, s[2:3], v[2:3]
	s_mov_b64 s[26:27], 0
	s_cbranch_vccnz .LBB0_12
; %bb.11:
	v_cvt_f32_u32_e32 v1, s22
	s_sub_i32 s0, 0, s22
	v_rcp_iflag_f32_e32 v1, v1
	s_nop 0
	v_mul_f32_e32 v1, 0x4f7ffffe, v1
	v_cvt_u32_f32_e32 v1, v1
	s_nop 0
	v_readfirstlane_b32 s1, v1
	s_mul_i32 s0, s0, s1
	s_mul_hi_u32 s0, s1, s0
	s_add_i32 s1, s1, s0
	s_mul_hi_u32 s0, s2, s1
	s_mul_i32 s3, s0, s22
	s_sub_i32 s2, s2, s3
	s_add_i32 s1, s0, 1
	s_sub_i32 s3, s2, s22
	s_cmp_ge_u32 s2, s22
	s_cselect_b32 s0, s1, s0
	s_cselect_b32 s2, s3, s2
	s_add_i32 s1, s0, 1
	s_cmp_ge_u32 s2, s22
	s_cselect_b32 s26, s1, s0
.LBB0_12:
	s_lshl_b64 s[0:1], s[14:15], 3
	s_add_u32 s0, s6, s0
	s_addc_u32 s1, s7, s1
	s_load_dwordx2 s[0:1], s[0:1], 0x0
	v_mul_u32_u24_e32 v1, 0x2aab, v0
	v_lshrrev_b32_e32 v1, 16, v1
	v_mul_lo_u16_e32 v2, 6, v1
	v_sub_u16_e32 v30, v0, v2
	s_waitcnt lgkmcnt(0)
	s_mul_i32 s0, s0, s26
	s_add_u32 s9, s0, s9
	s_add_u32 s0, s24, 6
	v_mov_b32_e32 v31, 0
	s_addc_u32 s1, s25, 0
	v_mov_b64_e32 v[2:3], s[20:21]
	v_lshl_add_u64 v[80:81], s[24:25], 0, v[30:31]
	v_cmp_le_u64_e32 vcc, s[0:1], v[2:3]
	v_mad_u64_u32 v[78:79], s[0:1], s10, v30, 0
	v_cmp_gt_u64_e64 s[0:1], s[20:21], v[80:81]
	v_mov_b64_e32 v[14:15], 0
	s_or_b64 s[2:3], vcc, s[0:1]
	v_mov_b64_e32 v[24:25], v[14:15]
	v_mov_b64_e32 v[22:23], v[14:15]
	s_and_saveexec_b64 s[4:5], s[2:3]
	s_cbranch_execz .LBB0_14
; %bb.13:
	v_mul_lo_u32 v2, s8, v1
	v_add3_u32 v2, s9, v78, v2
	v_mov_b32_e32 v3, v31
	v_lshl_add_u64 v[2:3], v[2:3], 4, s[16:17]
	global_load_dwordx4 v[22:25], v[2:3], off
.LBB0_14:
	s_or_b64 exec, exec, s[4:5]
	v_mov_b64_e32 v[12:13], v[14:15]
	s_and_saveexec_b64 s[4:5], s[2:3]
	s_cbranch_execz .LBB0_16
; %bb.15:
	v_add_u32_e32 v2, 56, v1
	v_mul_lo_u32 v2, s8, v2
	v_add3_u32 v2, s9, v78, v2
	v_mov_b32_e32 v3, 0
	v_lshl_add_u64 v[2:3], v[2:3], 4, s[16:17]
	global_load_dwordx4 v[12:15], v[2:3], off
.LBB0_16:
	s_or_b64 exec, exec, s[4:5]
	v_mov_b64_e32 v[4:5], 0
	v_mov_b64_e32 v[8:9], v[4:5]
	;; [unrolled: 1-line block ×3, first 2 shown]
	s_and_saveexec_b64 s[4:5], s[2:3]
	s_cbranch_execz .LBB0_18
; %bb.17:
	v_add_u32_e32 v2, 0x70, v1
	v_mul_lo_u32 v2, s8, v2
	v_add3_u32 v2, s9, v78, v2
	v_mov_b32_e32 v3, 0
	v_lshl_add_u64 v[2:3], v[2:3], 4, s[16:17]
	global_load_dwordx4 v[6:9], v[2:3], off
.LBB0_18:
	s_or_b64 exec, exec, s[4:5]
	v_mov_b64_e32 v[2:3], v[4:5]
	s_and_saveexec_b64 s[4:5], s[2:3]
	s_cbranch_execz .LBB0_20
; %bb.19:
	v_add_u32_e32 v2, 0xa8, v1
	v_mul_lo_u32 v2, s8, v2
	v_add3_u32 v2, s9, v78, v2
	v_mov_b32_e32 v3, 0
	v_lshl_add_u64 v[2:3], v[2:3], 4, s[16:17]
	global_load_dwordx4 v[2:5], v[2:3], off
.LBB0_20:
	s_or_b64 exec, exec, s[4:5]
	v_mov_b64_e32 v[18:19], 0
	v_mov_b64_e32 v[28:29], v[18:19]
	;; [unrolled: 1-line block ×3, first 2 shown]
	s_and_saveexec_b64 s[4:5], s[2:3]
	s_cbranch_execz .LBB0_22
; %bb.21:
	v_add_u32_e32 v10, 0xe0, v1
	v_mul_lo_u32 v10, s8, v10
	v_add3_u32 v10, s9, v78, v10
	v_mov_b32_e32 v11, 0
	v_lshl_add_u64 v[10:11], v[10:11], 4, s[16:17]
	global_load_dwordx4 v[26:29], v[10:11], off
.LBB0_22:
	s_or_b64 exec, exec, s[4:5]
	v_mov_b64_e32 v[16:17], v[18:19]
	s_and_saveexec_b64 s[4:5], s[2:3]
	s_cbranch_execz .LBB0_24
; %bb.23:
	v_add_u32_e32 v10, 0x118, v1
	v_mul_lo_u32 v10, s8, v10
	v_add3_u32 v10, s9, v78, v10
	v_mov_b32_e32 v11, 0
	v_lshl_add_u64 v[10:11], v[10:11], 4, s[16:17]
	global_load_dwordx4 v[16:19], v[10:11], off
.LBB0_24:
	s_or_b64 exec, exec, s[4:5]
	s_waitcnt vmcnt(0)
	v_add_f64 v[10:11], v[22:23], v[6:7]
	v_add_f64 v[20:21], v[10:11], v[26:27]
	;; [unrolled: 1-line block ×3, first 2 shown]
	s_mov_b32 s2, 0xe8584caa
	v_fmac_f64_e32 v[22:23], -0.5, v[10:11]
	v_add_f64 v[10:11], v[8:9], -v[28:29]
	s_mov_b32 s3, 0x3febb67a
	s_mov_b32 s5, 0xbfebb67a
	;; [unrolled: 1-line block ×3, first 2 shown]
	v_fma_f64 v[32:33], s[2:3], v[10:11], v[22:23]
	v_fmac_f64_e32 v[22:23], s[4:5], v[10:11]
	v_add_f64 v[10:11], v[24:25], v[8:9]
	v_add_f64 v[8:9], v[8:9], v[28:29]
	v_fmac_f64_e32 v[24:25], -0.5, v[8:9]
	v_add_f64 v[6:7], v[6:7], -v[26:27]
	v_fma_f64 v[26:27], s[4:5], v[6:7], v[24:25]
	v_fmac_f64_e32 v[24:25], s[2:3], v[6:7]
	v_add_f64 v[6:7], v[12:13], v[2:3]
	v_add_f64 v[34:35], v[10:11], v[28:29]
	;; [unrolled: 1-line block ×4, first 2 shown]
	v_fmac_f64_e32 v[12:13], -0.5, v[6:7]
	v_add_f64 v[6:7], v[4:5], -v[18:19]
	v_fma_f64 v[8:9], s[2:3], v[6:7], v[12:13]
	v_fmac_f64_e32 v[12:13], s[4:5], v[6:7]
	v_add_f64 v[6:7], v[14:15], v[4:5]
	v_add_f64 v[4:5], v[4:5], v[18:19]
	v_fmac_f64_e32 v[14:15], -0.5, v[4:5]
	v_add_f64 v[2:3], v[2:3], -v[16:17]
	v_add_f64 v[36:37], v[6:7], v[18:19]
	v_fma_f64 v[16:17], s[4:5], v[2:3], v[14:15]
	v_fmac_f64_e32 v[14:15], s[2:3], v[2:3]
	v_mul_f64 v[18:19], v[8:9], 0.5
	v_mul_f64 v[38:39], v[12:13], -0.5
	v_mul_f64 v[40:41], v[8:9], s[4:5]
	v_fmac_f64_e32 v[18:19], s[2:3], v[16:17]
	v_fmac_f64_e32 v[38:39], s[2:3], v[14:15]
	v_fmac_f64_e32 v[40:41], 0.5, v[16:17]
	v_mul_f64 v[42:43], v[14:15], -0.5
	s_movk_i32 s2, 0x240
	v_add_f64 v[2:3], v[20:21], v[28:29]
	v_add_f64 v[8:9], v[26:27], v[40:41]
	v_fmac_f64_e32 v[42:43], s[4:5], v[12:13]
	v_add_f64 v[14:15], v[20:21], -v[28:29]
	v_add_f64 v[20:21], v[26:27], -v[40:41]
	v_mad_u32_u24 v26, v1, s2, 0
	s_movk_i32 s2, 0x120
	v_add_f64 v[6:7], v[32:33], v[18:19]
	v_add_f64 v[10:11], v[22:23], v[38:39]
	;; [unrolled: 1-line block ×4, first 2 shown]
	v_add_f64 v[18:19], v[32:33], -v[18:19]
	v_add_f64 v[22:23], v[22:23], -v[38:39]
	;; [unrolled: 1-line block ×4, first 2 shown]
	v_lshl_add_u32 v27, v30, 4, v26
	v_cmp_gt_u32_e64 s[2:3], s2, v0
	v_lshlrev_b32_e32 v30, 4, v30
	ds_write_b128 v27, v[2:5]
	ds_write_b128 v27, v[6:9] offset:96
	ds_write_b128 v27, v[10:13] offset:192
	;; [unrolled: 1-line block ×5, first 2 shown]
	s_waitcnt lgkmcnt(0)
	s_barrier
	s_waitcnt lgkmcnt(0)
                                        ; implicit-def: $vgpr28_vgpr29
	s_and_saveexec_b64 s[4:5], s[2:3]
	s_cbranch_execz .LBB0_26
; %bb.25:
	v_mul_i32_i24_e32 v2, 0xfffffe20, v1
	v_add3_u32 v26, v26, v2, v30
	ds_read_b128 v[2:5], v26
	ds_read_b128 v[6:9], v26 offset:4608
	ds_read_b128 v[10:13], v26 offset:9216
	;; [unrolled: 1-line block ×6, first 2 shown]
.LBB0_26:
	s_or_b64 exec, exec, s[4:5]
	v_mul_lo_u16_e32 v31, 43, v1
	v_lshrrev_b16_e32 v31, 8, v31
	v_mul_lo_u16_e32 v32, 6, v31
	v_sub_u16_e32 v32, v1, v32
	v_and_b32_e32 v32, 0xff, v32
	v_mul_u32_u24_e32 v33, 6, v32
	v_lshlrev_b32_e32 v33, 4, v33
	global_load_dwordx4 v[34:37], v33, s[18:19]
	global_load_dwordx4 v[38:41], v33, s[18:19] offset:16
	global_load_dwordx4 v[42:45], v33, s[18:19] offset:32
	;; [unrolled: 1-line block ×5, first 2 shown]
	s_mov_b32 s4, 0x36b3c0b5
	s_mov_b32 s10, 0x37e14327
	;; [unrolled: 1-line block ×12, first 2 shown]
	s_waitcnt lgkmcnt(0)
	s_barrier
	s_waitcnt vmcnt(5)
	v_mul_f64 v[58:59], v[8:9], v[36:37]
	v_mul_f64 v[36:37], v[6:7], v[36:37]
	s_waitcnt vmcnt(4)
	v_mul_f64 v[60:61], v[12:13], v[40:41]
	v_mul_f64 v[40:41], v[10:11], v[40:41]
	;; [unrolled: 3-line block ×6, first 2 shown]
	v_fma_f64 v[6:7], v[6:7], v[34:35], -v[58:59]
	v_fmac_f64_e32 v[36:37], v[8:9], v[34:35]
	v_fma_f64 v[8:9], v[10:11], v[38:39], -v[60:61]
	v_fmac_f64_e32 v[40:41], v[12:13], v[38:39]
	;; [unrolled: 2-line block ×6, first 2 shown]
	v_add_f64 v[18:19], v[6:7], v[16:17]
	v_add_f64 v[20:21], v[36:37], v[56:57]
	;; [unrolled: 1-line block ×6, first 2 shown]
	v_add_f64 v[6:7], v[6:7], -v[16:17]
	v_add_f64 v[16:17], v[36:37], -v[56:57]
	;; [unrolled: 1-line block ×4, first 2 shown]
	v_add_f64 v[34:35], v[22:23], v[18:19]
	v_add_f64 v[36:37], v[24:25], v[20:21]
	v_add_f64 v[38:39], v[22:23], -v[18:19]
	v_add_f64 v[40:41], v[24:25], -v[20:21]
	;; [unrolled: 1-line block ×8, first 2 shown]
	v_add_f64 v[26:27], v[26:27], v[34:35]
	v_add_f64 v[28:29], v[28:29], v[36:37]
	v_mul_f64 v[34:35], v[22:23], s[4:5]
	v_mul_f64 v[36:37], v[24:25], s[4:5]
	v_add_f64 v[42:43], v[10:11], v[8:9]
	v_add_f64 v[44:45], v[12:13], v[14:15]
	v_add_f64 v[46:47], v[10:11], -v[8:9]
	v_add_f64 v[48:49], v[12:13], -v[14:15]
	v_mul_f64 v[18:19], v[18:19], s[10:11]
	v_mul_f64 v[20:21], v[20:21], s[10:11]
	v_fma_f64 v[34:35], v[38:39], s[22:23], -v[34:35]
	v_fma_f64 v[36:37], v[40:41], s[22:23], -v[36:37]
	s_mov_b32 s23, 0xbfe77f67
	v_add_f64 v[10:11], v[6:7], -v[10:11]
	v_add_f64 v[12:13], v[16:17], -v[12:13]
	;; [unrolled: 1-line block ×4, first 2 shown]
	v_add_f64 v[6:7], v[42:43], v[6:7]
	v_add_f64 v[16:17], v[44:45], v[16:17]
	v_mul_f64 v[42:43], v[46:47], s[14:15]
	v_mul_f64 v[44:45], v[48:49], s[14:15]
	v_fma_f64 v[22:23], s[4:5], v[22:23], v[18:19]
	v_fma_f64 v[18:19], v[38:39], s[22:23], -v[18:19]
	v_fma_f64 v[38:39], v[40:41], s[22:23], -v[20:21]
	v_fmac_f64_e32 v[20:21], s[4:5], v[24:25]
	s_mov_b32 s5, 0x3fd5d0dc
	s_mov_b32 s4, 0xb247c609
	v_mul_f64 v[46:47], v[8:9], s[6:7]
	v_mul_f64 v[48:49], v[14:15], s[6:7]
	v_fma_f64 v[24:25], s[4:5], v[10:11], v[42:43]
	v_fma_f64 v[40:41], v[8:9], s[6:7], -v[42:43]
	v_fma_f64 v[42:43], v[14:15], s[6:7], -v[44:45]
	v_fmac_f64_e32 v[44:45], s[4:5], v[12:13]
	s_mov_b32 s5, 0xbfd5d0dc
	v_add_f64 v[2:3], v[2:3], v[26:27]
	v_add_f64 v[4:5], v[4:5], v[28:29]
	v_fma_f64 v[46:47], v[10:11], s[4:5], -v[46:47]
	v_fma_f64 v[48:49], v[12:13], s[4:5], -v[48:49]
	s_mov_b32 s4, 0x37c3f68c
	v_fma_f64 v[26:27], s[20:21], v[26:27], v[2:3]
	v_fma_f64 v[28:29], s[20:21], v[28:29], v[4:5]
	s_mov_b32 s5, 0x3fdc38aa
	v_add_f64 v[22:23], v[22:23], v[26:27]
	v_add_f64 v[50:51], v[20:21], v[28:29]
	;; [unrolled: 1-line block ×6, first 2 shown]
	v_fmac_f64_e32 v[24:25], s[4:5], v[6:7]
	v_fmac_f64_e32 v[44:45], s[4:5], v[16:17]
	;; [unrolled: 1-line block ×6, first 2 shown]
	v_add_f64 v[18:19], v[44:45], v[22:23]
	v_add_f64 v[20:21], v[50:51], -v[24:25]
	v_add_f64 v[6:7], v[48:49], v[26:27]
	v_add_f64 v[8:9], v[28:29], -v[46:47]
	v_add_f64 v[14:15], v[10:11], -v[42:43]
	v_add_f64 v[16:17], v[40:41], v[12:13]
	v_add_f64 v[10:11], v[42:43], v[10:11]
	v_add_f64 v[12:13], v[12:13], -v[40:41]
	v_add_f64 v[26:27], v[26:27], -v[48:49]
	v_add_f64 v[28:29], v[46:47], v[28:29]
	v_add_f64 v[22:23], v[22:23], -v[44:45]
	v_add_f64 v[24:25], v[24:25], v[50:51]
	s_and_saveexec_b64 s[4:5], s[2:3]
	s_cbranch_execz .LBB0_28
; %bb.27:
	v_mad_u32_u24 v31, v31, 42, v32
	v_mul_u32_u24_e32 v31, 0x60, v31
	v_add3_u32 v31, 0, v31, v30
	ds_write_b128 v31, v[2:5]
	ds_write_b128 v31, v[18:21] offset:576
	ds_write_b128 v31, v[6:9] offset:1152
	;; [unrolled: 1-line block ×6, first 2 shown]
.LBB0_28:
	s_or_b64 exec, exec, s[4:5]
	s_movk_i32 s6, 0xfc
	v_cmp_gt_u32_e64 s[2:3], s6, v0
	s_waitcnt lgkmcnt(0)
	s_barrier
	s_waitcnt lgkmcnt(0)
                                        ; implicit-def: $vgpr32_vgpr33
	s_and_saveexec_b64 s[4:5], s[2:3]
	s_cbranch_execz .LBB0_30
; %bb.29:
	v_mul_u32_u24_e32 v2, 0x60, v1
	v_add3_u32 v30, 0, v2, v30
	ds_read_b128 v[2:5], v30
	ds_read_b128 v[18:21], v30 offset:4032
	ds_read_b128 v[6:9], v30 offset:8064
	;; [unrolled: 1-line block ×7, first 2 shown]
.LBB0_30:
	s_or_b64 exec, exec, s[4:5]
	s_movk_i32 s2, 0xfb
	v_cmp_lt_u32_e64 s[2:3], s2, v0
	v_cmp_gt_u32_e64 s[4:5], s6, v0
	v_cndmask_b32_e64 v35, 0, 1, s[0:1]
	s_or_b64 vcc, s[2:3], vcc
	v_cndmask_b32_e64 v34, 0, 1, s[4:5]
	v_cndmask_b32_e32 v34, v35, v34, vcc
	v_and_b32_e32 v34, 1, v34
	v_cmp_eq_u32_e32 vcc, 1, v34
	s_and_saveexec_b64 s[0:1], vcc
	s_cbranch_execz .LBB0_32
; %bb.31:
	v_mul_lo_u16_e32 v34, 49, v1
	v_lshrrev_b16_e32 v34, 11, v34
	v_mul_lo_u16_e32 v34, 42, v34
	v_sub_u16_e32 v1, v1, v34
	v_and_b32_e32 v1, 0xff, v1
	v_mul_u32_u24_e32 v34, 7, v1
	v_lshlrev_b32_e32 v54, 4, v34
	global_load_dwordx4 v[38:41], v54, s[18:19] offset:576
	global_load_dwordx4 v[46:49], v54, s[18:19] offset:640
	;; [unrolled: 1-line block ×4, first 2 shown]
	v_add_u32_e32 v55, 0x126, v1
	v_add_u32_e32 v56, 0xfc, v1
	v_mov_b32_e32 v79, 4
	global_load_dwordx4 v[50:53], v54, s[18:19] offset:624
	global_load_dwordx4 v[58:61], v54, s[18:19] offset:592
	v_mul_lo_u32 v62, v80, v55
	v_mul_lo_u32 v63, v80, v56
	v_mov_b32_e32 v81, 0x1000
	global_load_dwordx4 v[54:57], v54, s[18:19] offset:656
	v_lshlrev_b32_sdwa v82, v79, v62 dst_sel:DWORD dst_unused:UNUSED_PAD src0_sel:DWORD src1_sel:BYTE_0
	v_bfe_u32 v62, v62, 8, 8
	v_lshlrev_b32_sdwa v83, v79, v63 dst_sel:DWORD dst_unused:UNUSED_PAD src0_sel:DWORD src1_sel:BYTE_0
	v_bfe_u32 v63, v63, 8, 8
	v_lshl_or_b32 v84, v62, 4, v81
	v_lshl_or_b32 v85, v63, 4, v81
	global_load_dwordx4 v[62:65], v82, s[12:13]
	global_load_dwordx4 v[66:69], v84, s[12:13]
	;; [unrolled: 1-line block ×4, first 2 shown]
	v_add_u32_e32 v82, 0xd2, v1
	v_add_u32_e32 v83, 0xa8, v1
	v_mul_lo_u32 v86, v80, v82
	v_mul_lo_u32 v87, v80, v83
	v_add_u32_e32 v84, 0x7e, v1
	v_add_u32_e32 v85, 0x54, v1
	v_mul_lo_u32 v84, v80, v84
	v_mul_lo_u32 v85, v80, v85
	v_lshlrev_b32_sdwa v88, v79, v86 dst_sel:DWORD dst_unused:UNUSED_PAD src0_sel:DWORD src1_sel:BYTE_0
	v_lshlrev_b32_sdwa v92, v79, v87 dst_sel:DWORD dst_unused:UNUSED_PAD src0_sel:DWORD src1_sel:BYTE_0
	;; [unrolled: 1-line block ×4, first 2 shown]
	v_bfe_u32 v100, v85, 8, 8
	s_mov_b32 s0, 0x667f3bcd
	s_mov_b32 s1, 0x3fe6a09e
	;; [unrolled: 1-line block ×4, first 2 shown]
	s_waitcnt vmcnt(10) lgkmcnt(6)
	v_mul_f64 v[82:83], v[20:21], v[40:41]
	v_mul_f64 v[40:41], v[18:19], v[40:41]
	v_fmac_f64_e32 v[40:41], v[20:21], v[38:39]
	v_bfe_u32 v20, v86, 8, 8
	v_bfe_u32 v21, v87, 8, 8
	v_lshl_or_b32 v89, v20, 4, v81
	v_lshl_or_b32 v93, v21, 4, v81
	s_waitcnt vmcnt(9) lgkmcnt(2)
	v_mul_f64 v[20:21], v[28:29], v[48:49]
	v_fma_f64 v[18:19], v[18:19], v[38:39], -v[82:83]
	v_bfe_u32 v38, v84, 8, 8
	v_fma_f64 v[82:83], v[26:27], v[46:47], -v[20:21]
	s_waitcnt vmcnt(8)
	v_mul_f64 v[20:21], v[16:17], v[44:45]
	v_lshl_or_b32 v101, v38, 4, v81
	v_mul_f64 v[38:39], v[26:27], v[48:49]
	v_mul_f64 v[84:85], v[14:15], v[44:45]
	v_fma_f64 v[86:87], v[14:15], v[42:43], -v[20:21]
	s_waitcnt vmcnt(7) lgkmcnt(0)
	v_mul_f64 v[20:21], v[32:33], v[36:37]
	v_fmac_f64_e32 v[38:39], v[28:29], v[46:47]
	v_fmac_f64_e32 v[84:85], v[16:17], v[42:43]
	global_load_dwordx4 v[14:17], v88, s[12:13]
	global_load_dwordx4 v[26:29], v89, s[12:13]
	v_mul_f64 v[88:89], v[30:31], v[36:37]
	v_fma_f64 v[90:91], v[30:31], v[34:35], -v[20:21]
	s_waitcnt vmcnt(8)
	v_mul_f64 v[20:21], v[12:13], v[52:53]
	v_fmac_f64_e32 v[88:89], v[32:33], v[34:35]
	global_load_dwordx4 v[30:33], v92, s[12:13]
	global_load_dwordx4 v[34:37], v93, s[12:13]
	v_mul_f64 v[92:93], v[10:11], v[52:53]
	v_fma_f64 v[94:95], v[10:11], v[50:51], -v[20:21]
	s_waitcnt vmcnt(9)
	v_mul_f64 v[10:11], v[8:9], v[60:61]
	v_mul_f64 v[60:61], v[6:7], v[60:61]
	s_waitcnt vmcnt(8)
	v_mul_f64 v[20:21], v[24:25], v[56:57]
	v_mul_f64 v[56:57], v[22:23], v[56:57]
	v_fma_f64 v[96:97], v[6:7], v[58:59], -v[10:11]
	v_fmac_f64_e32 v[60:61], v[8:9], v[58:59]
	v_fma_f64 v[58:59], v[22:23], v[54:55], -v[20:21]
	v_fmac_f64_e32 v[56:57], v[24:25], v[54:55]
	s_waitcnt vmcnt(6)
	v_mul_f64 v[20:21], v[64:65], v[68:69]
	v_mul_f64 v[24:25], v[62:63], v[68:69]
	s_waitcnt vmcnt(4)
	v_mul_f64 v[22:23], v[72:73], v[76:77]
	v_lshl_or_b32 v46, v100, 4, v81
	v_fmac_f64_e32 v[92:93], v[12:13], v[50:51]
	global_load_dwordx4 v[6:9], v98, s[12:13]
	global_load_dwordx4 v[10:13], v101, s[12:13]
	v_fma_f64 v[62:63], v[62:63], v[66:67], -v[20:21]
	v_fmac_f64_e32 v[24:25], v[64:65], v[66:67]
	v_fma_f64 v[64:65], v[70:71], v[74:75], -v[22:23]
	global_load_dwordx4 v[20:23], v99, s[12:13]
	global_load_dwordx4 v[42:45], v46, s[12:13]
	v_add_u32_e32 v46, 42, v1
	v_mul_lo_u32 v46, v80, v46
	v_lshlrev_b32_sdwa v66, v79, v46 dst_sel:DWORD dst_unused:UNUSED_PAD src0_sel:DWORD src1_sel:BYTE_0
	v_bfe_u32 v46, v46, 8, 8
	v_lshl_or_b32 v67, v46, 4, v81
	global_load_dwordx4 v[46:49], v66, s[12:13]
	global_load_dwordx4 v[50:53], v67, s[12:13]
	v_mul_f64 v[54:55], v[70:71], v[76:77]
	v_add_f64 v[76:77], v[2:3], -v[94:95]
	v_add_f64 v[56:57], v[60:61], -v[56:57]
	;; [unrolled: 1-line block ×3, first 2 shown]
	v_fmac_f64_e32 v[54:55], v[72:73], v[74:75]
	v_fma_f64 v[40:41], v[40:41], 2.0, -v[38:39]
	s_waitcnt vmcnt(8)
	v_mul_f64 v[66:67], v[16:17], v[28:29]
	v_mul_f64 v[28:29], v[14:15], v[28:29]
	v_fma_f64 v[66:67], v[14:15], v[26:27], -v[66:67]
	v_fmac_f64_e32 v[28:29], v[16:17], v[26:27]
	s_waitcnt vmcnt(6)
	v_mul_f64 v[14:15], v[32:33], v[36:37]
	v_fma_f64 v[68:69], v[30:31], v[34:35], -v[14:15]
	v_mul_f64 v[36:37], v[30:31], v[36:37]
	v_fmac_f64_e32 v[36:37], v[32:33], v[34:35]
	v_add_f64 v[34:35], v[18:19], -v[82:83]
	v_fma_f64 v[18:19], v[18:19], 2.0, -v[34:35]
	s_waitcnt vmcnt(4)
	v_mul_f64 v[14:15], v[8:9], v[12:13]
	v_fma_f64 v[26:27], v[6:7], v[10:11], -v[14:15]
	v_mul_f64 v[30:31], v[6:7], v[12:13]
	v_fmac_f64_e32 v[30:31], v[8:9], v[10:11]
	s_waitcnt vmcnt(2)
	v_mul_f64 v[6:7], v[22:23], v[44:45]
	v_fma_f64 v[70:71], v[20:21], v[42:43], -v[6:7]
	v_mul_f64 v[32:33], v[20:21], v[44:45]
	v_fmac_f64_e32 v[32:33], v[22:23], v[42:43]
	s_waitcnt vmcnt(0)
	v_mul_f64 v[6:7], v[48:49], v[52:53]
	v_fma_f64 v[42:43], v[46:47], v[50:51], -v[6:7]
	v_mul_lo_u32 v6, v80, v1
	v_lshlrev_b32_sdwa v14, v79, v6 dst_sel:DWORD dst_unused:UNUSED_PAD src0_sel:DWORD src1_sel:BYTE_0
	v_bfe_u32 v6, v6, 8, 8
	v_lshl_or_b32 v15, v6, 4, v81
	global_load_dwordx4 v[6:9], v14, s[12:13]
	global_load_dwordx4 v[10:13], v15, s[12:13]
	v_mul_f64 v[44:45], v[46:47], v[52:53]
	v_add_f64 v[46:47], v[84:85], -v[88:89]
	v_fmac_f64_e32 v[44:45], v[48:49], v[50:51]
	v_add_f64 v[48:49], v[4:5], -v[92:93]
	v_add_f64 v[50:51], v[96:97], -v[58:59]
	v_add_f64 v[52:53], v[86:87], -v[90:91]
	v_add_f64 v[58:59], v[34:35], -v[46:47]
	v_add_f64 v[80:81], v[76:77], -v[56:57]
	v_add_f64 v[72:73], v[48:49], v[50:51]
	v_add_f64 v[74:75], v[38:39], v[52:53]
	v_fma_f64 v[22:23], s[0:1], v[58:59], v[80:81]
	v_fma_f64 v[20:21], s[0:1], v[74:75], v[72:73]
	v_fmac_f64_e32 v[22:23], s[2:3], v[74:75]
	v_fmac_f64_e32 v[20:21], s[0:1], v[58:59]
	v_mul_f64 v[16:17], v[22:23], v[24:25]
	v_mul_f64 v[14:15], v[20:21], v[24:25]
	v_fmac_f64_e32 v[16:17], v[20:21], v[62:63]
	v_fma_f64 v[24:25], v[72:73], 2.0, -v[20:21]
	v_fma_f64 v[20:21], v[80:81], 2.0, -v[22:23]
	v_fma_f64 v[14:15], v[22:23], v[62:63], -v[14:15]
	v_mul_f64 v[62:63], v[24:25], v[30:31]
	v_mul_f64 v[22:23], v[20:21], v[30:31]
	v_fma_f64 v[20:21], v[20:21], v[26:27], -v[62:63]
	v_fmac_f64_e32 v[22:23], v[24:25], v[26:27]
	v_fma_f64 v[24:25], v[60:61], 2.0, -v[56:57]
	v_fma_f64 v[26:27], v[86:87], 2.0, -v[52:53]
	;; [unrolled: 1-line block ×6, first 2 shown]
	v_add_f64 v[46:47], v[30:31], -v[24:25]
	v_add_f64 v[50:51], v[18:19], -v[26:27]
	;; [unrolled: 1-line block ×4, first 2 shown]
	v_add_f64 v[62:63], v[46:47], v[50:51]
	v_add_f64 v[82:83], v[56:57], -v[60:61]
	v_fma_f64 v[24:25], v[34:35], 2.0, -v[58:59]
	v_fma_f64 v[48:49], v[48:49], 2.0, -v[72:73]
	;; [unrolled: 1-line block ×4, first 2 shown]
	v_mul_f64 v[2:3], v[62:63], v[54:55]
	v_mul_f64 v[4:5], v[82:83], v[54:55]
	v_fma_f64 v[54:55], s[2:3], v[26:27], v[48:49]
	v_fma_f64 v[58:59], s[2:3], v[24:25], v[38:39]
	v_fmac_f64_e32 v[54:55], s[0:1], v[24:25]
	v_fmac_f64_e32 v[58:59], s[2:3], v[26:27]
	v_mul_f64 v[24:25], v[54:55], v[28:29]
	v_mul_f64 v[26:27], v[58:59], v[28:29]
	v_fma_f64 v[28:29], v[40:41], 2.0, -v[60:61]
	v_fma_f64 v[18:19], v[18:19], 2.0, -v[50:51]
	;; [unrolled: 1-line block ×4, first 2 shown]
	v_add_f64 v[50:51], v[40:41], -v[28:29]
	v_add_f64 v[18:19], v[52:53], -v[18:19]
	s_movk_i32 s0, 0x209
	v_mul_f64 v[28:29], v[50:51], v[36:37]
	v_mul_f64 v[30:31], v[18:19], v[36:37]
	v_fma_f64 v[36:37], v[46:47], 2.0, -v[62:63]
	v_fma_f64 v[46:47], v[56:57], 2.0, -v[82:83]
	v_mul_u32_u24_sdwa v0, v0, s0 dst_sel:DWORD dst_unused:UNUSED_PAD src0_sel:WORD_0 src1_sel:DWORD
	v_mul_f64 v[34:35], v[46:47], v[32:33]
	v_lshrrev_b32_e32 v0, 17, v0
	v_mul_f64 v[32:33], v[36:37], v[32:33]
	v_mul_lo_u16_e32 v0, 0x150, v0
	v_fmac_f64_e32 v[34:35], v[36:37], v[70:71]
	v_fma_f64 v[36:37], v[38:39], 2.0, -v[58:59]
	v_add_u32_e32 v56, v1, v0
	v_fma_f64 v[0:1], v[48:49], 2.0, -v[54:55]
	v_mul_f64 v[38:39], v[44:45], v[36:37]
	v_fma_f64 v[32:33], v[46:47], v[70:71], -v[32:33]
	v_fmac_f64_e32 v[38:39], v[42:43], v[0:1]
	v_mul_f64 v[0:1], v[44:45], v[0:1]
	v_fma_f64 v[36:37], v[42:43], v[36:37], -v[0:1]
	v_add_u32_e32 v0, s9, v78
	v_fma_f64 v[28:29], v[18:19], v[68:69], -v[28:29]
	v_mad_u64_u32 v[42:43], s[0:1], s8, v56, v[0:1]
	v_fma_f64 v[40:41], v[40:41], 2.0, -v[50:51]
	v_fma_f64 v[18:19], v[52:53], 2.0, -v[18:19]
	s_waitcnt vmcnt(0)
	v_mul_f64 v[46:47], v[8:9], v[12:13]
	v_fma_f64 v[46:47], v[6:7], v[10:11], -v[46:47]
	v_mul_f64 v[6:7], v[6:7], v[12:13]
	v_fmac_f64_e32 v[6:7], v[10:11], v[8:9]
	v_mov_b32_e32 v43, 0
	v_mul_f64 v[8:9], v[18:19], v[6:7]
	v_mul_f64 v[6:7], v[40:41], v[6:7]
	v_lshl_add_u64 v[44:45], v[42:43], 4, s[16:17]
	v_fmac_f64_e32 v[8:9], v[40:41], v[46:47]
	v_fma_f64 v[6:7], v[18:19], v[46:47], -v[6:7]
	v_add_u32_e32 v1, 42, v56
	global_store_dwordx4 v[44:45], v[6:9], off
	v_fmac_f64_e32 v[30:31], v[50:51], v[68:69]
	v_fma_f64 v[24:25], v[58:59], v[66:67], -v[24:25]
	v_mad_u64_u32 v[6:7], s[0:1], s8, v1, v[0:1]
	v_mov_b32_e32 v7, v43
	v_lshl_add_u64 v[6:7], v[6:7], 4, s[16:17]
	v_add_u32_e32 v1, 0x54, v56
	global_store_dwordx4 v[6:7], v[36:39], off
	v_mad_u64_u32 v[6:7], s[0:1], s8, v1, v[0:1]
	v_mov_b32_e32 v7, v43
	v_lshl_add_u64 v[6:7], v[6:7], 4, s[16:17]
	v_add_u32_e32 v1, 0x7e, v56
	global_store_dwordx4 v[6:7], v[32:35], off
	;; [unrolled: 5-line block ×4, first 2 shown]
	v_mad_u64_u32 v[6:7], s[0:1], s8, v1, v[0:1]
	v_mov_b32_e32 v7, v43
	v_fmac_f64_e32 v[26:27], v[54:55], v[66:67]
	v_lshl_add_u64 v[6:7], v[6:7], 4, s[16:17]
	v_add_u32_e32 v1, 0xfc, v56
	global_store_dwordx4 v[6:7], v[24:27], off
	v_mad_u64_u32 v[6:7], s[0:1], s8, v1, v[0:1]
	v_add_u32_e32 v1, 0x126, v56
	v_mad_u64_u32 v[0:1], s[0:1], s8, v1, v[0:1]
	v_mov_b32_e32 v7, v43
	v_mov_b32_e32 v1, v43
	v_fma_f64 v[2:3], v[82:83], v[64:65], -v[2:3]
	v_fmac_f64_e32 v[4:5], v[62:63], v[64:65]
	v_lshl_add_u64 v[6:7], v[6:7], 4, s[16:17]
	v_lshl_add_u64 v[0:1], v[0:1], 4, s[16:17]
	global_store_dwordx4 v[6:7], v[2:5], off
	global_store_dwordx4 v[0:1], v[14:17], off
.LBB0_32:
	s_endpgm
	.section	.rodata,"a",@progbits
	.p2align	6, 0x0
	.amdhsa_kernel fft_rtc_fwd_len336_factors_6_7_8_wgs_336_tpt_56_dp_ip_CI_sbcc_twdbase8_2step_dirReg_intrinsicReadWrite
		.amdhsa_group_segment_fixed_size 0
		.amdhsa_private_segment_fixed_size 0
		.amdhsa_kernarg_size 96
		.amdhsa_user_sgpr_count 2
		.amdhsa_user_sgpr_dispatch_ptr 0
		.amdhsa_user_sgpr_queue_ptr 0
		.amdhsa_user_sgpr_kernarg_segment_ptr 1
		.amdhsa_user_sgpr_dispatch_id 0
		.amdhsa_user_sgpr_kernarg_preload_length 0
		.amdhsa_user_sgpr_kernarg_preload_offset 0
		.amdhsa_user_sgpr_private_segment_size 0
		.amdhsa_uses_dynamic_stack 0
		.amdhsa_enable_private_segment 0
		.amdhsa_system_sgpr_workgroup_id_x 1
		.amdhsa_system_sgpr_workgroup_id_y 0
		.amdhsa_system_sgpr_workgroup_id_z 0
		.amdhsa_system_sgpr_workgroup_info 0
		.amdhsa_system_vgpr_workitem_id 0
		.amdhsa_next_free_vgpr 102
		.amdhsa_next_free_sgpr 43
		.amdhsa_accum_offset 104
		.amdhsa_reserve_vcc 1
		.amdhsa_float_round_mode_32 0
		.amdhsa_float_round_mode_16_64 0
		.amdhsa_float_denorm_mode_32 3
		.amdhsa_float_denorm_mode_16_64 3
		.amdhsa_dx10_clamp 1
		.amdhsa_ieee_mode 1
		.amdhsa_fp16_overflow 0
		.amdhsa_tg_split 0
		.amdhsa_exception_fp_ieee_invalid_op 0
		.amdhsa_exception_fp_denorm_src 0
		.amdhsa_exception_fp_ieee_div_zero 0
		.amdhsa_exception_fp_ieee_overflow 0
		.amdhsa_exception_fp_ieee_underflow 0
		.amdhsa_exception_fp_ieee_inexact 0
		.amdhsa_exception_int_div_zero 0
	.end_amdhsa_kernel
	.text
.Lfunc_end0:
	.size	fft_rtc_fwd_len336_factors_6_7_8_wgs_336_tpt_56_dp_ip_CI_sbcc_twdbase8_2step_dirReg_intrinsicReadWrite, .Lfunc_end0-fft_rtc_fwd_len336_factors_6_7_8_wgs_336_tpt_56_dp_ip_CI_sbcc_twdbase8_2step_dirReg_intrinsicReadWrite
                                        ; -- End function
	.section	.AMDGPU.csdata,"",@progbits
; Kernel info:
; codeLenInByte = 5768
; NumSgprs: 49
; NumVgprs: 102
; NumAgprs: 0
; TotalNumVgprs: 102
; ScratchSize: 0
; MemoryBound: 0
; FloatMode: 240
; IeeeMode: 1
; LDSByteSize: 0 bytes/workgroup (compile time only)
; SGPRBlocks: 6
; VGPRBlocks: 12
; NumSGPRsForWavesPerEU: 49
; NumVGPRsForWavesPerEU: 102
; AccumOffset: 104
; Occupancy: 4
; WaveLimiterHint : 1
; COMPUTE_PGM_RSRC2:SCRATCH_EN: 0
; COMPUTE_PGM_RSRC2:USER_SGPR: 2
; COMPUTE_PGM_RSRC2:TRAP_HANDLER: 0
; COMPUTE_PGM_RSRC2:TGID_X_EN: 1
; COMPUTE_PGM_RSRC2:TGID_Y_EN: 0
; COMPUTE_PGM_RSRC2:TGID_Z_EN: 0
; COMPUTE_PGM_RSRC2:TIDIG_COMP_CNT: 0
; COMPUTE_PGM_RSRC3_GFX90A:ACCUM_OFFSET: 25
; COMPUTE_PGM_RSRC3_GFX90A:TG_SPLIT: 0
	.text
	.p2alignl 6, 3212836864
	.fill 256, 4, 3212836864
	.type	__hip_cuid_e1cfee99a1d38afb,@object ; @__hip_cuid_e1cfee99a1d38afb
	.section	.bss,"aw",@nobits
	.globl	__hip_cuid_e1cfee99a1d38afb
__hip_cuid_e1cfee99a1d38afb:
	.byte	0                               ; 0x0
	.size	__hip_cuid_e1cfee99a1d38afb, 1

	.ident	"AMD clang version 19.0.0git (https://github.com/RadeonOpenCompute/llvm-project roc-6.4.0 25133 c7fe45cf4b819c5991fe208aaa96edf142730f1d)"
	.section	".note.GNU-stack","",@progbits
	.addrsig
	.addrsig_sym __hip_cuid_e1cfee99a1d38afb
	.amdgpu_metadata
---
amdhsa.kernels:
  - .agpr_count:     0
    .args:
      - .actual_access:  read_only
        .address_space:  global
        .offset:         0
        .size:           8
        .value_kind:     global_buffer
      - .address_space:  global
        .offset:         8
        .size:           8
        .value_kind:     global_buffer
      - .offset:         16
        .size:           8
        .value_kind:     by_value
      - .actual_access:  read_only
        .address_space:  global
        .offset:         24
        .size:           8
        .value_kind:     global_buffer
      - .actual_access:  read_only
        .address_space:  global
        .offset:         32
        .size:           8
        .value_kind:     global_buffer
      - .offset:         40
        .size:           8
        .value_kind:     by_value
      - .actual_access:  read_only
        .address_space:  global
        .offset:         48
        .size:           8
        .value_kind:     global_buffer
      - .actual_access:  read_only
        .address_space:  global
        .offset:         56
        .size:           8
        .value_kind:     global_buffer
      - .offset:         64
        .size:           4
        .value_kind:     by_value
      - .actual_access:  read_only
        .address_space:  global
        .offset:         72
        .size:           8
        .value_kind:     global_buffer
      - .actual_access:  read_only
        .address_space:  global
        .offset:         80
        .size:           8
        .value_kind:     global_buffer
      - .address_space:  global
        .offset:         88
        .size:           8
        .value_kind:     global_buffer
    .group_segment_fixed_size: 0
    .kernarg_segment_align: 8
    .kernarg_segment_size: 96
    .language:       OpenCL C
    .language_version:
      - 2
      - 0
    .max_flat_workgroup_size: 336
    .name:           fft_rtc_fwd_len336_factors_6_7_8_wgs_336_tpt_56_dp_ip_CI_sbcc_twdbase8_2step_dirReg_intrinsicReadWrite
    .private_segment_fixed_size: 0
    .sgpr_count:     49
    .sgpr_spill_count: 0
    .symbol:         fft_rtc_fwd_len336_factors_6_7_8_wgs_336_tpt_56_dp_ip_CI_sbcc_twdbase8_2step_dirReg_intrinsicReadWrite.kd
    .uniform_work_group_size: 1
    .uses_dynamic_stack: false
    .vgpr_count:     102
    .vgpr_spill_count: 0
    .wavefront_size: 64
amdhsa.target:   amdgcn-amd-amdhsa--gfx950
amdhsa.version:
  - 1
  - 2
...

	.end_amdgpu_metadata
